;; amdgpu-corpus repo=ROCm/rocFFT kind=compiled arch=gfx1030 opt=O3
	.text
	.amdgcn_target "amdgcn-amd-amdhsa--gfx1030"
	.amdhsa_code_object_version 6
	.protected	bluestein_single_fwd_len25_dim1_dp_op_CI_CI ; -- Begin function bluestein_single_fwd_len25_dim1_dp_op_CI_CI
	.globl	bluestein_single_fwd_len25_dim1_dp_op_CI_CI
	.p2align	8
	.type	bluestein_single_fwd_len25_dim1_dp_op_CI_CI,@function
bluestein_single_fwd_len25_dim1_dp_op_CI_CI: ; @bluestein_single_fwd_len25_dim1_dp_op_CI_CI
; %bb.0:
	s_load_dwordx4 s[12:15], s[4:5], 0x28
	v_mul_u32_u24_e32 v1, 0x3334, v0
	s_mov_b32 s0, exec_lo
	v_lshrrev_b32_e32 v1, 16, v1
	v_mad_u64_u32 v[36:37], null, s6, 51, v[1:2]
	v_mov_b32_e32 v37, 0
	s_waitcnt lgkmcnt(0)
	v_cmpx_gt_u64_e64 s[12:13], v[36:37]
	s_cbranch_execz .LBB0_2
; %bb.1:
	s_clause 0x1
	s_load_dwordx4 s[0:3], s[4:5], 0x18
	s_load_dwordx4 s[8:11], s[4:5], 0x0
	v_mul_lo_u16 v1, v1, 5
	s_mov_b32 s13, 0xbfee6f0e
	v_sub_nc_u16 v20, v0, v1
	v_and_b32_e32 v37, 0xffff, v20
	v_mul_lo_u16 v20, v20, 5
	v_lshlrev_b32_e32 v39, 4, v37
	v_and_b32_e32 v20, 0xffff, v20
	s_waitcnt lgkmcnt(0)
	s_load_dwordx4 s[16:19], s[0:1], 0x0
	s_add_u32 s20, s8, 0x190
	s_addc_u32 s21, s9, 0
	s_waitcnt lgkmcnt(0)
	v_mad_u64_u32 v[0:1], null, s18, v36, 0
	v_mad_u64_u32 v[2:3], null, s16, v37, 0
	s_mul_i32 s0, s17, 0x50
	s_mul_hi_u32 s1, s16, 0x50
	s_mul_i32 s6, s16, 0x50
	s_add_i32 s1, s1, s0
	v_mad_u64_u32 v[4:5], null, s19, v36, v[1:2]
	s_mov_b32 s18, 0x372fe950
	s_mov_b32 s19, 0x3fd3c6ef
	v_mad_u64_u32 v[5:6], null, s17, v37, v[3:4]
	v_mov_b32_e32 v1, v4
	s_mov_b32 s16, 0x4755a5e
	s_mov_b32 s17, 0x3fe2cf23
	v_lshlrev_b64 v[0:1], 4, v[0:1]
	v_mov_b32_e32 v3, v5
	v_add_co_u32 v0, vcc_lo, s14, v0
	v_lshlrev_b64 v[2:3], 4, v[2:3]
	v_add_co_ci_u32_e32 v1, vcc_lo, s15, v1, vcc_lo
	s_mov_b32 s15, 0xbfe2cf23
	s_mov_b32 s14, s16
	v_add_co_u32 v8, vcc_lo, v0, v2
	v_add_co_ci_u32_e32 v9, vcc_lo, v1, v3, vcc_lo
	s_clause 0x1
	global_load_dwordx4 v[4:7], v39, s[8:9]
	global_load_dwordx4 v[0:3], v39, s[8:9] offset:80
	v_add_co_u32 v10, vcc_lo, v8, s6
	v_add_co_ci_u32_e32 v11, vcc_lo, s1, v9, vcc_lo
	global_load_dwordx4 v[21:24], v[8:9], off
	v_add_co_u32 v12, vcc_lo, v10, s6
	v_add_co_ci_u32_e32 v13, vcc_lo, s1, v11, vcc_lo
	s_clause 0x1
	global_load_dwordx4 v[25:28], v[10:11], off
	global_load_dwordx4 v[29:32], v[12:13], off
	v_add_co_u32 v16, vcc_lo, v12, s6
	v_add_co_ci_u32_e32 v17, vcc_lo, s1, v13, vcc_lo
	v_add_co_u32 v33, vcc_lo, v16, s6
	v_add_co_ci_u32_e32 v34, vcc_lo, s1, v17, vcc_lo
	s_clause 0x1
	global_load_dwordx4 v[12:15], v39, s[8:9] offset:160
	global_load_dwordx4 v[8:11], v39, s[8:9] offset:240
	global_load_dwordx4 v[40:43], v[16:17], off
	global_load_dwordx4 v[16:19], v39, s[8:9] offset:320
	global_load_dwordx4 v[44:47], v[33:34], off
	v_mul_hi_u32 v33, 0xa0a0a0a1, v36
	s_load_dwordx4 s[0:3], s[2:3], 0x0
	s_mov_b32 s6, 0x134454ff
	s_mov_b32 s7, 0x3fee6f0e
	;; [unrolled: 1-line block ×3, first 2 shown]
	v_lshrrev_b32_e32 v35, 5, v33
	v_mul_lo_u32 v35, v35, 51
	v_sub_nc_u32_e32 v35, v36, v35
	s_waitcnt vmcnt(7)
	v_mul_f64 v[33:34], v[23:24], v[6:7]
	v_mul_f64 v[48:49], v[21:22], v[6:7]
	s_waitcnt vmcnt(6)
	v_mul_f64 v[50:51], v[27:28], v[2:3]
	v_mul_f64 v[52:53], v[25:26], v[2:3]
	s_waitcnt vmcnt(4)
	v_mul_f64 v[54:55], v[31:32], v[14:15]
	v_mul_f64 v[56:57], v[29:30], v[14:15]
	s_waitcnt vmcnt(2)
	v_mul_f64 v[58:59], v[42:43], v[10:11]
	v_mul_f64 v[60:61], v[40:41], v[10:11]
	s_waitcnt vmcnt(0)
	v_mul_f64 v[62:63], v[46:47], v[18:19]
	v_mul_f64 v[64:65], v[44:45], v[18:19]
	v_fma_f64 v[21:22], v[21:22], v[4:5], v[33:34]
	v_fma_f64 v[23:24], v[23:24], v[4:5], -v[48:49]
	v_mul_u32_u24_e32 v33, 25, v35
	v_fma_f64 v[25:26], v[25:26], v[0:1], v[50:51]
	v_fma_f64 v[27:28], v[27:28], v[0:1], -v[52:53]
	v_lshlrev_b32_e32 v35, 4, v33
	v_fma_f64 v[29:30], v[29:30], v[12:13], v[54:55]
	v_fma_f64 v[31:32], v[31:32], v[12:13], -v[56:57]
	v_fma_f64 v[40:41], v[40:41], v[8:9], v[58:59]
	v_fma_f64 v[42:43], v[42:43], v[8:9], -v[60:61]
	;; [unrolled: 2-line block ×3, first 2 shown]
	v_add_nc_u32_e32 v38, v39, v35
	ds_write_b128 v38, v[21:24]
	ds_write_b128 v38, v[25:28] offset:80
	ds_write_b128 v38, v[29:32] offset:160
	;; [unrolled: 1-line block ×4, first 2 shown]
	s_waitcnt lgkmcnt(0)
	s_barrier
	buffer_gl0_inv
	ds_read_b128 v[21:24], v38 offset:160
	ds_read_b128 v[25:28], v38 offset:240
	;; [unrolled: 1-line block ×4, first 2 shown]
	ds_read_b128 v[44:47], v38
	s_waitcnt lgkmcnt(0)
	s_barrier
	buffer_gl0_inv
	v_add_f64 v[33:34], v[21:22], v[25:26]
	v_add_f64 v[50:51], v[23:24], v[27:28]
	v_add_f64 v[48:49], v[40:41], v[29:30]
	v_add_f64 v[52:53], v[42:43], v[31:32]
	v_add_f64 v[54:55], v[44:45], v[40:41]
	v_add_f64 v[56:57], v[46:47], v[42:43]
	v_add_f64 v[58:59], v[42:43], -v[31:32]
	v_add_f64 v[62:63], v[40:41], -v[29:30]
	;; [unrolled: 1-line block ×9, first 2 shown]
	v_fma_f64 v[33:34], v[33:34], -0.5, v[44:45]
	v_fma_f64 v[50:51], v[50:51], -0.5, v[46:47]
	;; [unrolled: 1-line block ×3, first 2 shown]
	v_add_f64 v[48:49], v[21:22], -v[25:26]
	v_fma_f64 v[46:47], v[52:53], -0.5, v[46:47]
	v_add_f64 v[52:53], v[40:41], -v[21:22]
	v_add_f64 v[40:41], v[21:22], -v[40:41]
	v_add_f64 v[21:22], v[54:55], v[21:22]
	v_add_f64 v[23:24], v[56:57], v[23:24]
	;; [unrolled: 1-line block ×3, first 2 shown]
	v_fma_f64 v[54:55], v[58:59], s[6:7], v[33:34]
	v_fma_f64 v[33:34], v[58:59], s[12:13], v[33:34]
	;; [unrolled: 1-line block ×8, first 2 shown]
	v_add_f64 v[21:22], v[21:22], v[25:26]
	v_add_f64 v[23:24], v[23:24], v[27:28]
	;; [unrolled: 1-line block ×5, first 2 shown]
	v_lshl_add_u32 v40, v20, 4, v35
	v_fma_f64 v[25:26], v[60:61], s[16:17], v[54:55]
	v_fma_f64 v[27:28], v[60:61], s[14:15], v[33:34]
	;; [unrolled: 1-line block ×8, first 2 shown]
	v_add_f64 v[21:22], v[21:22], v[29:30]
	v_add_f64 v[23:24], v[23:24], v[31:32]
	v_fma_f64 v[25:26], v[52:53], s[18:19], v[25:26]
	v_fma_f64 v[29:30], v[52:53], s[18:19], v[27:28]
	;; [unrolled: 1-line block ×8, first 2 shown]
	v_lshlrev_b32_e32 v33, 6, v37
	ds_write_b128 v40, v[21:24]
	ds_write_b128 v40, v[25:28] offset:16
	ds_write_b128 v40, v[41:44] offset:32
	;; [unrolled: 1-line block ×4, first 2 shown]
	s_waitcnt lgkmcnt(0)
	s_barrier
	buffer_gl0_inv
	s_clause 0x3
	global_load_dwordx4 v[28:31], v33, s[10:11]
	global_load_dwordx4 v[24:27], v33, s[10:11] offset:16
	global_load_dwordx4 v[20:23], v33, s[10:11] offset:48
	;; [unrolled: 1-line block ×3, first 2 shown]
	ds_read_b128 v[41:44], v38 offset:80
	ds_read_b128 v[45:48], v38 offset:160
	;; [unrolled: 1-line block ×4, first 2 shown]
	ds_read_b128 v[57:60], v38
	s_waitcnt vmcnt(3) lgkmcnt(4)
	v_mul_f64 v[61:62], v[43:44], v[30:31]
	v_mul_f64 v[63:64], v[41:42], v[30:31]
	s_waitcnt vmcnt(2) lgkmcnt(3)
	v_mul_f64 v[65:66], v[47:48], v[26:27]
	s_waitcnt vmcnt(1) lgkmcnt(2)
	v_mul_f64 v[67:68], v[51:52], v[22:23]
	v_mul_f64 v[69:70], v[49:50], v[22:23]
	;; [unrolled: 1-line block ×3, first 2 shown]
	s_waitcnt vmcnt(0) lgkmcnt(1)
	v_mul_f64 v[73:74], v[55:56], v[34:35]
	v_mul_f64 v[75:76], v[53:54], v[34:35]
	v_fma_f64 v[41:42], v[41:42], v[28:29], -v[61:62]
	v_fma_f64 v[43:44], v[43:44], v[28:29], v[63:64]
	v_fma_f64 v[45:46], v[45:46], v[24:25], -v[65:66]
	v_fma_f64 v[49:50], v[49:50], v[20:21], -v[67:68]
	v_fma_f64 v[51:52], v[51:52], v[20:21], v[69:70]
	v_fma_f64 v[47:48], v[47:48], v[24:25], v[71:72]
	v_fma_f64 v[53:54], v[53:54], v[32:33], -v[73:74]
	v_fma_f64 v[55:56], v[55:56], v[32:33], v[75:76]
	s_waitcnt lgkmcnt(0)
	v_add_f64 v[79:80], v[57:58], v[41:42]
	v_add_f64 v[81:82], v[59:60], v[43:44]
	v_add_f64 v[69:70], v[45:46], -v[41:42]
	v_add_f64 v[61:62], v[41:42], v[49:50]
	v_add_f64 v[63:64], v[43:44], v[51:52]
	v_add_f64 v[75:76], v[43:44], -v[51:52]
	;; [unrolled: 3-line block ×3, first 2 shown]
	v_add_f64 v[73:74], v[47:48], -v[55:56]
	v_add_f64 v[83:84], v[41:42], -v[49:50]
	;; [unrolled: 1-line block ×6, first 2 shown]
	v_add_f64 v[45:46], v[79:80], v[45:46]
	v_fma_f64 v[61:62], v[61:62], -0.5, v[57:58]
	v_fma_f64 v[63:64], v[63:64], -0.5, v[59:60]
	;; [unrolled: 1-line block ×4, first 2 shown]
	v_add_f64 v[65:66], v[47:48], -v[43:44]
	v_add_f64 v[67:68], v[55:56], -v[51:52]
	;; [unrolled: 1-line block ×3, first 2 shown]
	v_add_f64 v[47:48], v[81:82], v[47:48]
	v_add_f64 v[69:70], v[69:70], v[71:72]
	v_fma_f64 v[71:72], v[73:74], s[12:13], v[61:62]
	v_fma_f64 v[61:62], v[73:74], s[6:7], v[61:62]
	;; [unrolled: 1-line block ×8, first 2 shown]
	v_add_f64 v[65:66], v[65:66], v[67:68]
	v_add_f64 v[67:68], v[41:42], v[85:86]
	v_add_f64 v[85:86], v[43:44], v[87:88]
	v_add_f64 v[41:42], v[45:46], v[53:54]
	v_add_f64 v[43:44], v[47:48], v[55:56]
	v_fma_f64 v[45:46], v[75:76], s[16:17], v[71:72]
	v_fma_f64 v[53:54], v[75:76], s[14:15], v[61:62]
	;; [unrolled: 1-line block ×8, first 2 shown]
	v_add_f64 v[41:42], v[41:42], v[49:50]
	v_add_f64 v[43:44], v[43:44], v[51:52]
	v_fma_f64 v[45:46], v[69:70], s[18:19], v[45:46]
	v_fma_f64 v[49:50], v[69:70], s[18:19], v[53:54]
	;; [unrolled: 1-line block ×8, first 2 shown]
	ds_write_b128 v38, v[41:44]
	ds_write_b128 v38, v[53:56] offset:80
	ds_write_b128 v38, v[45:48] offset:160
	;; [unrolled: 1-line block ×4, first 2 shown]
	s_waitcnt lgkmcnt(0)
	s_barrier
	buffer_gl0_inv
	s_clause 0x4
	global_load_dwordx4 v[41:44], v39, s[8:9] offset:400
	global_load_dwordx4 v[45:48], v39, s[20:21] offset:80
	;; [unrolled: 1-line block ×5, first 2 shown]
	ds_read_b128 v[61:64], v38
	ds_read_b128 v[65:68], v38 offset:80
	ds_read_b128 v[69:72], v38 offset:160
	;; [unrolled: 1-line block ×4, first 2 shown]
	s_waitcnt vmcnt(4) lgkmcnt(4)
	v_mul_f64 v[81:82], v[63:64], v[43:44]
	v_mul_f64 v[43:44], v[61:62], v[43:44]
	s_waitcnt vmcnt(3) lgkmcnt(3)
	v_mul_f64 v[83:84], v[67:68], v[47:48]
	v_mul_f64 v[47:48], v[65:66], v[47:48]
	;; [unrolled: 3-line block ×3, first 2 shown]
	v_fma_f64 v[61:62], v[61:62], v[41:42], -v[81:82]
	v_mul_f64 v[81:82], v[71:72], v[51:52]
	v_mul_f64 v[51:52], v[69:70], v[51:52]
	v_fma_f64 v[63:64], v[63:64], v[41:42], v[43:44]
	v_fma_f64 v[41:42], v[65:66], v[45:46], -v[83:84]
	s_waitcnt vmcnt(0) lgkmcnt(0)
	v_mul_f64 v[65:66], v[79:80], v[59:60]
	v_mul_f64 v[59:60], v[77:78], v[59:60]
	v_fma_f64 v[43:44], v[67:68], v[45:46], v[47:48]
	v_fma_f64 v[45:46], v[69:70], v[49:50], -v[81:82]
	v_fma_f64 v[47:48], v[71:72], v[49:50], v[51:52]
	v_fma_f64 v[49:50], v[73:74], v[53:54], -v[85:86]
	;; [unrolled: 2-line block ×3, first 2 shown]
	v_fma_f64 v[55:56], v[79:80], v[57:58], v[59:60]
	ds_write_b128 v38, v[61:64]
	ds_write_b128 v38, v[41:44] offset:80
	ds_write_b128 v38, v[45:48] offset:160
	;; [unrolled: 1-line block ×4, first 2 shown]
	s_waitcnt lgkmcnt(0)
	s_barrier
	buffer_gl0_inv
	ds_read_b128 v[41:44], v38 offset:160
	ds_read_b128 v[45:48], v38 offset:240
	;; [unrolled: 1-line block ×4, first 2 shown]
	ds_read_b128 v[57:60], v38
	s_waitcnt lgkmcnt(0)
	s_barrier
	buffer_gl0_inv
	v_add_f64 v[61:62], v[41:42], v[45:46]
	v_add_f64 v[63:64], v[43:44], v[47:48]
	;; [unrolled: 1-line block ×6, first 2 shown]
	v_add_f64 v[75:76], v[49:50], -v[41:42]
	v_add_f64 v[79:80], v[53:54], -v[45:46]
	;; [unrolled: 1-line block ×9, first 2 shown]
	v_fma_f64 v[61:62], v[61:62], -0.5, v[57:58]
	v_fma_f64 v[63:64], v[63:64], -0.5, v[59:60]
	;; [unrolled: 1-line block ×4, first 2 shown]
	v_add_f64 v[65:66], v[51:52], -v[43:44]
	v_add_f64 v[51:52], v[43:44], -v[51:52]
	v_add_f64 v[41:42], v[69:70], v[41:42]
	v_add_f64 v[43:44], v[71:72], v[43:44]
	;; [unrolled: 1-line block ×3, first 2 shown]
	v_add_f64 v[67:68], v[45:46], -v[53:54]
	v_fma_f64 v[71:72], v[81:82], s[12:13], v[61:62]
	v_fma_f64 v[75:76], v[83:84], s[6:7], v[63:64]
	v_fma_f64 v[79:80], v[73:74], s[6:7], v[57:58]
	v_fma_f64 v[89:90], v[77:78], s[12:13], v[59:60]
	v_fma_f64 v[57:58], v[73:74], s[12:13], v[57:58]
	v_fma_f64 v[59:60], v[77:78], s[6:7], v[59:60]
	v_fma_f64 v[61:62], v[81:82], s[6:7], v[61:62]
	v_fma_f64 v[63:64], v[83:84], s[12:13], v[63:64]
	v_add_f64 v[41:42], v[41:42], v[45:46]
	v_add_f64 v[43:44], v[43:44], v[47:48]
	;; [unrolled: 1-line block ×5, first 2 shown]
	v_fma_f64 v[45:46], v[73:74], s[14:15], v[71:72]
	v_fma_f64 v[47:48], v[77:78], s[16:17], v[75:76]
	;; [unrolled: 1-line block ×8, first 2 shown]
	v_add_f64 v[41:42], v[41:42], v[53:54]
	v_add_f64 v[43:44], v[43:44], v[55:56]
	v_fma_f64 v[45:46], v[69:70], s[18:19], v[45:46]
	v_fma_f64 v[47:48], v[65:66], s[18:19], v[47:48]
	;; [unrolled: 1-line block ×8, first 2 shown]
	ds_write_b128 v40, v[41:44]
	ds_write_b128 v40, v[45:48] offset:16
	ds_write_b128 v40, v[49:52] offset:32
	;; [unrolled: 1-line block ×4, first 2 shown]
	s_waitcnt lgkmcnt(0)
	s_barrier
	buffer_gl0_inv
	ds_read_b128 v[39:42], v38 offset:80
	ds_read_b128 v[43:46], v38 offset:160
	;; [unrolled: 1-line block ×4, first 2 shown]
	ds_read_b128 v[55:58], v38
	s_waitcnt lgkmcnt(4)
	v_mul_f64 v[59:60], v[30:31], v[41:42]
	s_waitcnt lgkmcnt(3)
	v_mul_f64 v[61:62], v[26:27], v[45:46]
	;; [unrolled: 2-line block ×3, first 2 shown]
	v_mul_f64 v[30:31], v[30:31], v[39:40]
	s_waitcnt lgkmcnt(1)
	v_mul_f64 v[65:66], v[22:23], v[53:54]
	v_mul_f64 v[26:27], v[26:27], v[43:44]
	;; [unrolled: 1-line block ×4, first 2 shown]
	v_fma_f64 v[39:40], v[28:29], v[39:40], v[59:60]
	v_fma_f64 v[43:44], v[24:25], v[43:44], v[61:62]
	;; [unrolled: 1-line block ×3, first 2 shown]
	v_fma_f64 v[28:29], v[28:29], v[41:42], -v[30:31]
	v_fma_f64 v[30:31], v[20:21], v[51:52], v[65:66]
	v_fma_f64 v[24:25], v[24:25], v[45:46], -v[26:27]
	v_fma_f64 v[26:27], v[32:33], v[49:50], -v[34:35]
	;; [unrolled: 1-line block ×3, first 2 shown]
	s_waitcnt lgkmcnt(0)
	v_add_f64 v[49:50], v[55:56], v[39:40]
	v_add_f64 v[20:21], v[43:44], v[47:48]
	;; [unrolled: 1-line block ×4, first 2 shown]
	v_add_f64 v[59:60], v[39:40], -v[30:31]
	v_add_f64 v[34:35], v[24:25], v[26:27]
	v_add_f64 v[41:42], v[28:29], v[22:23]
	v_add_f64 v[51:52], v[28:29], -v[22:23]
	v_add_f64 v[53:54], v[24:25], -v[26:27]
	;; [unrolled: 1-line block ×8, first 2 shown]
	v_fma_f64 v[20:21], v[20:21], -0.5, v[55:56]
	v_add_f64 v[24:25], v[45:46], v[24:25]
	v_fma_f64 v[32:33], v[32:33], -0.5, v[55:56]
	v_add_f64 v[55:56], v[43:44], -v[47:48]
	v_fma_f64 v[34:35], v[34:35], -0.5, v[57:58]
	v_fma_f64 v[41:42], v[41:42], -0.5, v[57:58]
	v_add_f64 v[57:58], v[39:40], -v[43:44]
	v_add_f64 v[39:40], v[43:44], -v[39:40]
	v_add_f64 v[43:44], v[49:50], v[43:44]
	v_fma_f64 v[45:46], v[51:52], s[12:13], v[20:21]
	v_fma_f64 v[20:21], v[51:52], s[6:7], v[20:21]
	;; [unrolled: 1-line block ×8, first 2 shown]
	v_add_f64 v[39:40], v[39:40], v[63:64]
	v_add_f64 v[63:64], v[28:29], v[69:70]
	;; [unrolled: 1-line block ×6, first 2 shown]
	s_mul_hi_u32 s6, s0, 0x50
	v_fma_f64 v[26:27], v[53:54], s[14:15], v[45:46]
	v_fma_f64 v[43:44], v[53:54], s[16:17], v[20:21]
	;; [unrolled: 1-line block ×8, first 2 shown]
	v_add_f64 v[20:21], v[28:29], v[30:31]
	v_add_f64 v[22:23], v[24:25], v[22:23]
	v_fma_f64 v[24:25], v[57:58], s[18:19], v[26:27]
	v_fma_f64 v[28:29], v[57:58], s[18:19], v[43:44]
	;; [unrolled: 1-line block ×8, first 2 shown]
	ds_write_b128 v38, v[20:23]
	ds_write_b128 v38, v[24:27] offset:80
	ds_write_b128 v38, v[32:35] offset:160
	;; [unrolled: 1-line block ×4, first 2 shown]
	s_waitcnt lgkmcnt(0)
	s_barrier
	buffer_gl0_inv
	ds_read_b128 v[20:23], v38
	ds_read_b128 v[24:27], v38 offset:80
	ds_read_b128 v[28:31], v38 offset:160
	;; [unrolled: 1-line block ×4, first 2 shown]
	v_mad_u64_u32 v[42:43], null, s2, v36, 0
	v_mad_u64_u32 v[44:45], null, s0, v37, 0
	s_mulk_i32 s0, 0x50
	v_mad_u64_u32 v[46:47], null, s3, v36, v[43:44]
	s_load_dwordx2 s[2:3], s[4:5], 0x38
	s_mov_b32 s4, 0x47ae147b
	s_mov_b32 s5, 0x3fa47ae1
	s_waitcnt lgkmcnt(0)
	v_mul_f64 v[47:48], v[6:7], v[22:23]
	v_mul_f64 v[6:7], v[6:7], v[20:21]
	;; [unrolled: 1-line block ×10, first 2 shown]
	v_mad_u64_u32 v[36:37], null, s1, v37, v[45:46]
	v_mov_b32_e32 v43, v46
	s_mulk_i32 s1, 0x50
	s_add_i32 s6, s6, s1
	v_mov_b32_e32 v45, v36
	v_lshlrev_b64 v[36:37], 4, v[42:43]
	v_fma_f64 v[20:21], v[4:5], v[20:21], v[47:48]
	v_fma_f64 v[4:5], v[4:5], v[22:23], -v[6:7]
	v_fma_f64 v[6:7], v[0:1], v[24:25], v[49:50]
	v_fma_f64 v[22:23], v[0:1], v[26:27], -v[2:3]
	;; [unrolled: 2-line block ×5, first 2 shown]
	v_lshlrev_b64 v[0:1], 4, v[44:45]
	v_add_co_u32 v2, vcc_lo, s2, v36
	v_add_co_ci_u32_e32 v3, vcc_lo, s3, v37, vcc_lo
	v_add_co_u32 v30, vcc_lo, v2, v0
	v_add_co_ci_u32_e32 v31, vcc_lo, v3, v1, vcc_lo
	v_mul_f64 v[0:1], v[20:21], s[4:5]
	v_mul_f64 v[2:3], v[4:5], s[4:5]
	;; [unrolled: 1-line block ×10, first 2 shown]
	v_add_co_u32 v20, vcc_lo, v30, s0
	v_add_co_ci_u32_e32 v21, vcc_lo, s6, v31, vcc_lo
	v_add_co_u32 v22, vcc_lo, v20, s0
	v_add_co_ci_u32_e32 v23, vcc_lo, s6, v21, vcc_lo
	;; [unrolled: 2-line block ×4, first 2 shown]
	global_store_dwordx4 v[30:31], v[0:3], off
	global_store_dwordx4 v[20:21], v[4:7], off
	;; [unrolled: 1-line block ×5, first 2 shown]
.LBB0_2:
	s_endpgm
	.section	.rodata,"a",@progbits
	.p2align	6, 0x0
	.amdhsa_kernel bluestein_single_fwd_len25_dim1_dp_op_CI_CI
		.amdhsa_group_segment_fixed_size 20400
		.amdhsa_private_segment_fixed_size 0
		.amdhsa_kernarg_size 104
		.amdhsa_user_sgpr_count 6
		.amdhsa_user_sgpr_private_segment_buffer 1
		.amdhsa_user_sgpr_dispatch_ptr 0
		.amdhsa_user_sgpr_queue_ptr 0
		.amdhsa_user_sgpr_kernarg_segment_ptr 1
		.amdhsa_user_sgpr_dispatch_id 0
		.amdhsa_user_sgpr_flat_scratch_init 0
		.amdhsa_user_sgpr_private_segment_size 0
		.amdhsa_wavefront_size32 1
		.amdhsa_uses_dynamic_stack 0
		.amdhsa_system_sgpr_private_segment_wavefront_offset 0
		.amdhsa_system_sgpr_workgroup_id_x 1
		.amdhsa_system_sgpr_workgroup_id_y 0
		.amdhsa_system_sgpr_workgroup_id_z 0
		.amdhsa_system_sgpr_workgroup_info 0
		.amdhsa_system_vgpr_workitem_id 0
		.amdhsa_next_free_vgpr 91
		.amdhsa_next_free_sgpr 22
		.amdhsa_reserve_vcc 1
		.amdhsa_reserve_flat_scratch 0
		.amdhsa_float_round_mode_32 0
		.amdhsa_float_round_mode_16_64 0
		.amdhsa_float_denorm_mode_32 3
		.amdhsa_float_denorm_mode_16_64 3
		.amdhsa_dx10_clamp 1
		.amdhsa_ieee_mode 1
		.amdhsa_fp16_overflow 0
		.amdhsa_workgroup_processor_mode 1
		.amdhsa_memory_ordered 1
		.amdhsa_forward_progress 0
		.amdhsa_shared_vgpr_count 0
		.amdhsa_exception_fp_ieee_invalid_op 0
		.amdhsa_exception_fp_denorm_src 0
		.amdhsa_exception_fp_ieee_div_zero 0
		.amdhsa_exception_fp_ieee_overflow 0
		.amdhsa_exception_fp_ieee_underflow 0
		.amdhsa_exception_fp_ieee_inexact 0
		.amdhsa_exception_int_div_zero 0
	.end_amdhsa_kernel
	.text
.Lfunc_end0:
	.size	bluestein_single_fwd_len25_dim1_dp_op_CI_CI, .Lfunc_end0-bluestein_single_fwd_len25_dim1_dp_op_CI_CI
                                        ; -- End function
	.section	.AMDGPU.csdata,"",@progbits
; Kernel info:
; codeLenInByte = 4116
; NumSgprs: 24
; NumVgprs: 91
; ScratchSize: 0
; MemoryBound: 0
; FloatMode: 240
; IeeeMode: 1
; LDSByteSize: 20400 bytes/workgroup (compile time only)
; SGPRBlocks: 2
; VGPRBlocks: 11
; NumSGPRsForWavesPerEU: 24
; NumVGPRsForWavesPerEU: 91
; Occupancy: 10
; WaveLimiterHint : 1
; COMPUTE_PGM_RSRC2:SCRATCH_EN: 0
; COMPUTE_PGM_RSRC2:USER_SGPR: 6
; COMPUTE_PGM_RSRC2:TRAP_HANDLER: 0
; COMPUTE_PGM_RSRC2:TGID_X_EN: 1
; COMPUTE_PGM_RSRC2:TGID_Y_EN: 0
; COMPUTE_PGM_RSRC2:TGID_Z_EN: 0
; COMPUTE_PGM_RSRC2:TIDIG_COMP_CNT: 0
	.text
	.p2alignl 6, 3214868480
	.fill 48, 4, 3214868480
	.type	__hip_cuid_53a33292abd64383,@object ; @__hip_cuid_53a33292abd64383
	.section	.bss,"aw",@nobits
	.globl	__hip_cuid_53a33292abd64383
__hip_cuid_53a33292abd64383:
	.byte	0                               ; 0x0
	.size	__hip_cuid_53a33292abd64383, 1

	.ident	"AMD clang version 19.0.0git (https://github.com/RadeonOpenCompute/llvm-project roc-6.4.0 25133 c7fe45cf4b819c5991fe208aaa96edf142730f1d)"
	.section	".note.GNU-stack","",@progbits
	.addrsig
	.addrsig_sym __hip_cuid_53a33292abd64383
	.amdgpu_metadata
---
amdhsa.kernels:
  - .args:
      - .actual_access:  read_only
        .address_space:  global
        .offset:         0
        .size:           8
        .value_kind:     global_buffer
      - .actual_access:  read_only
        .address_space:  global
        .offset:         8
        .size:           8
        .value_kind:     global_buffer
      - .actual_access:  read_only
        .address_space:  global
        .offset:         16
        .size:           8
        .value_kind:     global_buffer
      - .actual_access:  read_only
        .address_space:  global
        .offset:         24
        .size:           8
        .value_kind:     global_buffer
      - .actual_access:  read_only
        .address_space:  global
        .offset:         32
        .size:           8
        .value_kind:     global_buffer
      - .offset:         40
        .size:           8
        .value_kind:     by_value
      - .address_space:  global
        .offset:         48
        .size:           8
        .value_kind:     global_buffer
      - .address_space:  global
        .offset:         56
        .size:           8
        .value_kind:     global_buffer
      - .address_space:  global
        .offset:         64
        .size:           8
        .value_kind:     global_buffer
      - .address_space:  global
        .offset:         72
        .size:           8
        .value_kind:     global_buffer
      - .offset:         80
        .size:           4
        .value_kind:     by_value
      - .address_space:  global
        .offset:         88
        .size:           8
        .value_kind:     global_buffer
      - .address_space:  global
        .offset:         96
        .size:           8
        .value_kind:     global_buffer
    .group_segment_fixed_size: 20400
    .kernarg_segment_align: 8
    .kernarg_segment_size: 104
    .language:       OpenCL C
    .language_version:
      - 2
      - 0
    .max_flat_workgroup_size: 255
    .name:           bluestein_single_fwd_len25_dim1_dp_op_CI_CI
    .private_segment_fixed_size: 0
    .sgpr_count:     24
    .sgpr_spill_count: 0
    .symbol:         bluestein_single_fwd_len25_dim1_dp_op_CI_CI.kd
    .uniform_work_group_size: 1
    .uses_dynamic_stack: false
    .vgpr_count:     91
    .vgpr_spill_count: 0
    .wavefront_size: 32
    .workgroup_processor_mode: 1
amdhsa.target:   amdgcn-amd-amdhsa--gfx1030
amdhsa.version:
  - 1
  - 2
...

	.end_amdgpu_metadata
